;; amdgpu-corpus repo=ROCm/rocm-libraries kind=compiled arch=gfx1100 opt=O3
	.text
	.amdgcn_target "amdgcn-amd-amdhsa--gfx1100"
	.amdhsa_code_object_version 6
	.section	.text._ZN2ckL12flush_icacheEv,"axG",@progbits,_ZN2ckL12flush_icacheEv,comdat
	.globl	_ZN2ckL12flush_icacheEv         ; -- Begin function _ZN2ckL12flush_icacheEv
	.p2align	8
	.type	_ZN2ckL12flush_icacheEv,@function
_ZN2ckL12flush_icacheEv:                ; @_ZN2ckL12flush_icacheEv
; %bb.0:
	;;#ASMSTART
	s_icache_inv 
	s_nop 0 
	s_nop 0 
	;; [unrolled: 1-line block ×16, first 2 shown]
	
	;;#ASMEND
	s_endpgm
	.section	.rodata,"a",@progbits
	.p2align	6, 0x0
	.amdhsa_kernel _ZN2ckL12flush_icacheEv
		.amdhsa_group_segment_fixed_size 0
		.amdhsa_private_segment_fixed_size 0
		.amdhsa_kernarg_size 0
		.amdhsa_user_sgpr_count 15
		.amdhsa_user_sgpr_dispatch_ptr 0
		.amdhsa_user_sgpr_queue_ptr 0
		.amdhsa_user_sgpr_kernarg_segment_ptr 0
		.amdhsa_user_sgpr_dispatch_id 0
		.amdhsa_user_sgpr_private_segment_size 0
		.amdhsa_wavefront_size32 1
		.amdhsa_uses_dynamic_stack 0
		.amdhsa_enable_private_segment 0
		.amdhsa_system_sgpr_workgroup_id_x 1
		.amdhsa_system_sgpr_workgroup_id_y 0
		.amdhsa_system_sgpr_workgroup_id_z 0
		.amdhsa_system_sgpr_workgroup_info 0
		.amdhsa_system_vgpr_workitem_id 0
		.amdhsa_next_free_vgpr 1
		.amdhsa_next_free_sgpr 1
		.amdhsa_reserve_vcc 0
		.amdhsa_float_round_mode_32 0
		.amdhsa_float_round_mode_16_64 0
		.amdhsa_float_denorm_mode_32 3
		.amdhsa_float_denorm_mode_16_64 3
		.amdhsa_dx10_clamp 1
		.amdhsa_ieee_mode 1
		.amdhsa_fp16_overflow 0
		.amdhsa_workgroup_processor_mode 1
		.amdhsa_memory_ordered 1
		.amdhsa_forward_progress 0
		.amdhsa_shared_vgpr_count 0
		.amdhsa_exception_fp_ieee_invalid_op 0
		.amdhsa_exception_fp_denorm_src 0
		.amdhsa_exception_fp_ieee_div_zero 0
		.amdhsa_exception_fp_ieee_overflow 0
		.amdhsa_exception_fp_ieee_underflow 0
		.amdhsa_exception_fp_ieee_inexact 0
		.amdhsa_exception_int_div_zero 0
	.end_amdhsa_kernel
	.section	.text._ZN2ckL12flush_icacheEv,"axG",@progbits,_ZN2ckL12flush_icacheEv,comdat
.Lfunc_end0:
	.size	_ZN2ckL12flush_icacheEv, .Lfunc_end0-_ZN2ckL12flush_icacheEv
                                        ; -- End function
	.section	.AMDGPU.csdata,"",@progbits
; Kernel info:
; codeLenInByte = 344
; NumSgprs: 0
; NumVgprs: 0
; ScratchSize: 0
; MemoryBound: 0
; FloatMode: 240
; IeeeMode: 1
; LDSByteSize: 0 bytes/workgroup (compile time only)
; SGPRBlocks: 0
; VGPRBlocks: 0
; NumSGPRsForWavesPerEU: 1
; NumVGPRsForWavesPerEU: 1
; Occupancy: 16
; WaveLimiterHint : 0
; COMPUTE_PGM_RSRC2:SCRATCH_EN: 0
; COMPUTE_PGM_RSRC2:USER_SGPR: 15
; COMPUTE_PGM_RSRC2:TRAP_HANDLER: 0
; COMPUTE_PGM_RSRC2:TGID_X_EN: 1
; COMPUTE_PGM_RSRC2:TGID_Y_EN: 0
; COMPUTE_PGM_RSRC2:TGID_Z_EN: 0
; COMPUTE_PGM_RSRC2:TIDIG_COMP_CNT: 0
	.section	.text._Z23DeviceImageToColumnPad0IN2ck7wrapper6TensorILNS0_16AddressSpaceEnumE1EKfNS0_5TupleIJNS5_IJiNS5_IJiiiiEEEEEES6_EEENS0_16TensorDescriptorINS5_IJNS0_5EmbedINS5_IJiiiiiiiiiEEESB_Lb0EEEEEENS5_IJNS0_8SequenceIJLi0EEEEEEENS5_IJNSE_IJLi1ELi2ELi3ELi4ELi5ELi6ELi7ELi8ELi9EEEEEEESH_lEEEENS2_ILS3_1EfS8_SJ_EEKNS5_IJNS0_17integral_constantIiLi32EEENSM_IiLi64EEEEEEKNS1_6LayoutINS5_IJNSM_IiLi8EEENSM_IiLi16EEEEEENS9_INS5_IJNSA_ISU_NS5_IJST_NSM_IiLi1EEEEEELb0EEEEEESG_NS5_IJNSE_IJLi1ELi2EEEEEEESZ_NSM_IlLl128EEEEEEEEvT_T0_T1_T2_,"axG",@progbits,_Z23DeviceImageToColumnPad0IN2ck7wrapper6TensorILNS0_16AddressSpaceEnumE1EKfNS0_5TupleIJNS5_IJiNS5_IJiiiiEEEEEES6_EEENS0_16TensorDescriptorINS5_IJNS0_5EmbedINS5_IJiiiiiiiiiEEESB_Lb0EEEEEENS5_IJNS0_8SequenceIJLi0EEEEEEENS5_IJNSE_IJLi1ELi2ELi3ELi4ELi5ELi6ELi7ELi8ELi9EEEEEEESH_lEEEENS2_ILS3_1EfS8_SJ_EEKNS5_IJNS0_17integral_constantIiLi32EEENSM_IiLi64EEEEEEKNS1_6LayoutINS5_IJNSM_IiLi8EEENSM_IiLi16EEEEEENS9_INS5_IJNSA_ISU_NS5_IJST_NSM_IiLi1EEEEEELb0EEEEEESG_NS5_IJNSE_IJLi1ELi2EEEEEEESZ_NSM_IlLl128EEEEEEEEvT_T0_T1_T2_,comdat
	.protected	_Z23DeviceImageToColumnPad0IN2ck7wrapper6TensorILNS0_16AddressSpaceEnumE1EKfNS0_5TupleIJNS5_IJiNS5_IJiiiiEEEEEES6_EEENS0_16TensorDescriptorINS5_IJNS0_5EmbedINS5_IJiiiiiiiiiEEESB_Lb0EEEEEENS5_IJNS0_8SequenceIJLi0EEEEEEENS5_IJNSE_IJLi1ELi2ELi3ELi4ELi5ELi6ELi7ELi8ELi9EEEEEEESH_lEEEENS2_ILS3_1EfS8_SJ_EEKNS5_IJNS0_17integral_constantIiLi32EEENSM_IiLi64EEEEEEKNS1_6LayoutINS5_IJNSM_IiLi8EEENSM_IiLi16EEEEEENS9_INS5_IJNSA_ISU_NS5_IJST_NSM_IiLi1EEEEEELb0EEEEEESG_NS5_IJNSE_IJLi1ELi2EEEEEEESZ_NSM_IlLl128EEEEEEEEvT_T0_T1_T2_ ; -- Begin function _Z23DeviceImageToColumnPad0IN2ck7wrapper6TensorILNS0_16AddressSpaceEnumE1EKfNS0_5TupleIJNS5_IJiNS5_IJiiiiEEEEEES6_EEENS0_16TensorDescriptorINS5_IJNS0_5EmbedINS5_IJiiiiiiiiiEEESB_Lb0EEEEEENS5_IJNS0_8SequenceIJLi0EEEEEEENS5_IJNSE_IJLi1ELi2ELi3ELi4ELi5ELi6ELi7ELi8ELi9EEEEEEESH_lEEEENS2_ILS3_1EfS8_SJ_EEKNS5_IJNS0_17integral_constantIiLi32EEENSM_IiLi64EEEEEEKNS1_6LayoutINS5_IJNSM_IiLi8EEENSM_IiLi16EEEEEENS9_INS5_IJNSA_ISU_NS5_IJST_NSM_IiLi1EEEEEELb0EEEEEESG_NS5_IJNSE_IJLi1ELi2EEEEEEESZ_NSM_IlLl128EEEEEEEEvT_T0_T1_T2_
	.globl	_Z23DeviceImageToColumnPad0IN2ck7wrapper6TensorILNS0_16AddressSpaceEnumE1EKfNS0_5TupleIJNS5_IJiNS5_IJiiiiEEEEEES6_EEENS0_16TensorDescriptorINS5_IJNS0_5EmbedINS5_IJiiiiiiiiiEEESB_Lb0EEEEEENS5_IJNS0_8SequenceIJLi0EEEEEEENS5_IJNSE_IJLi1ELi2ELi3ELi4ELi5ELi6ELi7ELi8ELi9EEEEEEESH_lEEEENS2_ILS3_1EfS8_SJ_EEKNS5_IJNS0_17integral_constantIiLi32EEENSM_IiLi64EEEEEEKNS1_6LayoutINS5_IJNSM_IiLi8EEENSM_IiLi16EEEEEENS9_INS5_IJNSA_ISU_NS5_IJST_NSM_IiLi1EEEEEELb0EEEEEESG_NS5_IJNSE_IJLi1ELi2EEEEEEESZ_NSM_IlLl128EEEEEEEEvT_T0_T1_T2_
	.p2align	8
	.type	_Z23DeviceImageToColumnPad0IN2ck7wrapper6TensorILNS0_16AddressSpaceEnumE1EKfNS0_5TupleIJNS5_IJiNS5_IJiiiiEEEEEES6_EEENS0_16TensorDescriptorINS5_IJNS0_5EmbedINS5_IJiiiiiiiiiEEESB_Lb0EEEEEENS5_IJNS0_8SequenceIJLi0EEEEEEENS5_IJNSE_IJLi1ELi2ELi3ELi4ELi5ELi6ELi7ELi8ELi9EEEEEEESH_lEEEENS2_ILS3_1EfS8_SJ_EEKNS5_IJNS0_17integral_constantIiLi32EEENSM_IiLi64EEEEEEKNS1_6LayoutINS5_IJNSM_IiLi8EEENSM_IiLi16EEEEEENS9_INS5_IJNSA_ISU_NS5_IJST_NSM_IiLi1EEEEEELb0EEEEEESG_NS5_IJNSE_IJLi1ELi2EEEEEEESZ_NSM_IlLl128EEEEEEEEvT_T0_T1_T2_,@function
_Z23DeviceImageToColumnPad0IN2ck7wrapper6TensorILNS0_16AddressSpaceEnumE1EKfNS0_5TupleIJNS5_IJiNS5_IJiiiiEEEEEES6_EEENS0_16TensorDescriptorINS5_IJNS0_5EmbedINS5_IJiiiiiiiiiEEESB_Lb0EEEEEENS5_IJNS0_8SequenceIJLi0EEEEEEENS5_IJNSE_IJLi1ELi2ELi3ELi4ELi5ELi6ELi7ELi8ELi9EEEEEEESH_lEEEENS2_ILS3_1EfS8_SJ_EEKNS5_IJNS0_17integral_constantIiLi32EEENSM_IiLi64EEEEEEKNS1_6LayoutINS5_IJNSM_IiLi8EEENSM_IiLi16EEEEEENS9_INS5_IJNSA_ISU_NS5_IJST_NSM_IiLi1EEEEEELb0EEEEEESG_NS5_IJNSE_IJLi1ELi2EEEEEEESZ_NSM_IlLl128EEEEEEEEvT_T0_T1_T2_: ; @_Z23DeviceImageToColumnPad0IN2ck7wrapper6TensorILNS0_16AddressSpaceEnumE1EKfNS0_5TupleIJNS5_IJiNS5_IJiiiiEEEEEES6_EEENS0_16TensorDescriptorINS5_IJNS0_5EmbedINS5_IJiiiiiiiiiEEESB_Lb0EEEEEENS5_IJNS0_8SequenceIJLi0EEEEEEENS5_IJNSE_IJLi1ELi2ELi3ELi4ELi5ELi6ELi7ELi8ELi9EEEEEEESH_lEEEENS2_ILS3_1EfS8_SJ_EEKNS5_IJNS0_17integral_constantIiLi32EEENSM_IiLi64EEEEEEKNS1_6LayoutINS5_IJNSM_IiLi8EEENSM_IiLi16EEEEEENS9_INS5_IJNSA_ISU_NS5_IJST_NSM_IiLi1EEEEEELb0EEEEEESG_NS5_IJNSE_IJLi1ELi2EEEEEEESZ_NSM_IlLl128EEEEEEEEvT_T0_T1_T2_
; %bb.0:
	s_clause 0x2
	s_load_b256 s[4:11], s[0:1], 0x1e8
	s_load_b32 s2, s[0:1], 0x208
	s_load_b64 s[28:29], s[0:1], 0x210
	v_lshrrev_b32_e32 v2, 2, v0
	s_load_b128 s[24:27], s[0:1], 0x1cc
	s_mov_b32 s31, 0x31004000
	s_clause 0x2
	s_load_b128 s[52:55], s[0:1], 0x3b8
	s_load_b128 s[60:63], s[0:1], 0x3a4
	;; [unrolled: 1-line block ×3, first 2 shown]
	s_mov_b32 s39, s31
	v_lshlrev_b32_e32 v0, 2, v0
	v_and_b32_e32 v4, 28, v2
	s_waitcnt lgkmcnt(0)
	s_mul_i32 s3, s5, s4
	s_mul_i32 s4, s10, s9
	;; [unrolled: 1-line block ×7, first 2 shown]
	s_add_i32 s2, s2, 63
	s_add_i32 s3, s3, 31
	s_ashr_i32 s4, s2, 31
	s_ashr_i32 s5, s3, 31
	s_lshr_b32 s4, s4, 26
	s_lshr_b32 s5, s5, 27
	s_add_i32 s2, s2, s4
	s_add_i32 s3, s3, s5
	s_ashr_i32 s2, s2, 6
	s_ashr_i32 s3, s3, 5
	s_mul_i32 s7, s2, s15
	s_mul_i32 s4, s2, s3
	s_add_i32 s7, s7, s14
	s_abs_i32 s4, s4
	s_abs_i32 s8, s7
	v_cvt_f32_u32_e32 v1, s4
	s_sub_i32 s6, 0, s4
	s_delay_alu instid0(VALU_DEP_1) | instskip(SKIP_2) | instid1(VALU_DEP_1)
	v_rcp_iflag_f32_e32 v1, v1
	s_waitcnt_depctr 0xfff
	v_mul_f32_e32 v1, 0x4f7ffffe, v1
	v_cvt_u32_f32_e32 v1, v1
	s_delay_alu instid0(VALU_DEP_1) | instskip(NEXT) | instid1(VALU_DEP_1)
	v_readfirstlane_b32 s5, v1
	s_mul_i32 s6, s6, s5
	s_delay_alu instid0(SALU_CYCLE_1) | instskip(NEXT) | instid1(SALU_CYCLE_1)
	s_mul_hi_u32 s6, s5, s6
	s_add_i32 s5, s5, s6
	s_ashr_i32 s6, s7, 31
	s_mul_hi_u32 s5, s8, s5
	s_delay_alu instid0(SALU_CYCLE_1) | instskip(NEXT) | instid1(SALU_CYCLE_1)
	s_mul_i32 s5, s5, s4
	s_sub_i32 s5, s8, s5
	s_delay_alu instid0(SALU_CYCLE_1) | instskip(SKIP_2) | instid1(SALU_CYCLE_1)
	s_sub_i32 s7, s5, s4
	s_cmp_ge_u32 s5, s4
	s_cselect_b32 s5, s7, s5
	s_sub_i32 s7, s5, s4
	s_cmp_ge_u32 s5, s4
	s_cselect_b32 s4, s7, s5
	s_abs_i32 s5, s2
	s_xor_b32 s4, s4, s6
	v_cvt_f32_u32_e32 v1, s5
	s_sub_i32 s8, 0, s5
	s_sub_i32 s12, s4, s6
	s_delay_alu instid0(SALU_CYCLE_1) | instskip(NEXT) | instid1(VALU_DEP_1)
	s_abs_i32 s6, s12
	v_rcp_iflag_f32_e32 v1, v1
	s_waitcnt_depctr 0xfff
	v_mul_f32_e32 v1, 0x4f7ffffe, v1
	s_delay_alu instid0(VALU_DEP_1) | instskip(NEXT) | instid1(VALU_DEP_1)
	v_cvt_u32_f32_e32 v1, v1
	v_readfirstlane_b32 s7, v1
	s_delay_alu instid0(VALU_DEP_1) | instskip(NEXT) | instid1(SALU_CYCLE_1)
	s_mul_i32 s8, s8, s7
	s_mul_hi_u32 s4, s7, s8
	s_delay_alu instid0(SALU_CYCLE_1) | instskip(NEXT) | instid1(SALU_CYCLE_1)
	s_add_i32 s7, s7, s4
	s_mul_hi_u32 s4, s6, s7
	s_xor_b32 s7, s12, s2
	s_mul_i32 s8, s4, s5
	s_ashr_i32 s13, s7, 31
	s_sub_i32 s6, s6, s8
	s_add_i32 s7, s4, 1
	s_sub_i32 s8, s6, s5
	s_cmp_ge_u32 s6, s5
	s_cselect_b32 s4, s7, s4
	s_cselect_b32 s6, s8, s6
	s_add_i32 s7, s4, 1
	s_cmp_ge_u32 s6, s5
	s_cselect_b32 s16, s7, s4
	s_lshr_b32 s17, s3, 29
	s_xor_b32 s16, s16, s13
	s_add_i32 s17, s3, s17
	s_sub_i32 s13, s16, s13
	s_and_b32 s17, s17, -8
	s_load_b256 s[4:11], s[0:1], 0x420
	s_sub_i32 s3, s3, s17
	s_cmp_ge_i32 s13, s17
	s_clause 0x1
	s_load_b32 s17, s[0:1], 0x440
	s_load_b64 s[36:37], s[0:1], 0x448
	s_cselect_b32 s3, s3, 8
	s_delay_alu instid0(SALU_CYCLE_1) | instskip(NEXT) | instid1(SALU_CYCLE_1)
	s_abs_i32 s16, s3
	v_cvt_f32_u32_e32 v1, s16
	s_delay_alu instid0(VALU_DEP_1)
	v_rcp_iflag_f32_e32 v1, v1
	s_waitcnt lgkmcnt(0)
	s_mul_i32 s4, s5, s4
	s_mul_i32 s5, s10, s9
	s_ashr_i32 s9, s13, 31
	s_waitcnt_depctr 0xfff
	v_mul_f32_e32 v1, 0x4f7ffffe, v1
	s_mul_i32 s4, s4, s6
	s_lshr_b32 s6, s9, 29
	s_mul_i32 s5, s5, s11
	s_add_i32 s6, s13, s6
	v_cvt_u32_f32_e32 v1, v1
	s_and_b32 s6, s6, -8
	s_mul_i32 s9, s13, s2
	s_sub_i32 s6, s13, s6
	s_sub_i32 s11, 0, s16
	v_readfirstlane_b32 s10, v1
	s_sub_i32 s9, s12, s9
	s_mul_i32 s2, s6, s2
	s_mul_i32 s4, s4, s7
	s_add_i32 s2, s2, s9
	s_mul_i32 s11, s11, s10
	s_mul_i32 s5, s5, s17
	s_mul_hi_u32 s9, s10, s11
	s_abs_i32 s11, s2
	s_add_i32 s10, s10, s9
	s_xor_b32 s9, s2, s3
	s_mul_hi_u32 s7, s11, s10
	s_ashr_i32 s9, s9, 31
	s_mul_i32 s10, s7, s16
	s_mul_i32 s4, s4, s8
	s_sub_i32 s10, s11, s10
	s_add_i32 s11, s7, 1
	s_sub_i32 s12, s10, s16
	s_cmp_ge_u32 s10, s16
	s_cselect_b32 s7, s11, s7
	s_cselect_b32 s10, s12, s10
	s_add_i32 s11, s7, 1
	s_cmp_ge_u32 s10, s16
	s_clause 0x1
	s_load_b128 s[40:43], s[0:1], 0x16c
	s_load_b256 s[16:23], s[0:1], 0x1ac
	s_cselect_b32 s7, s11, s7
	s_add_i32 s5, s5, 63
	s_add_i32 s4, s4, 31
	s_ashr_i32 s8, s5, 31
	s_ashr_i32 s10, s4, 31
	s_lshr_b32 s8, s8, 26
	s_lshr_b32 s10, s10, 27
	s_add_i32 s5, s5, s8
	s_add_i32 s4, s4, s10
	s_ashr_i32 s12, s5, 6
	s_ashr_i32 s30, s4, 5
	s_xor_b32 s5, s7, s9
	s_mul_i32 s4, s12, s30
	s_sub_i32 s5, s5, s9
	s_abs_i32 s4, s4
	s_mul_i32 s3, s5, s3
	v_cvt_f32_u32_e32 v1, s4
	s_lshl_b32 s5, s5, 6
	s_sub_i32 s2, s2, s3
	s_mul_i32 s3, s12, s15
	s_add_i32 s2, s2, s13
	v_rcp_iflag_f32_e32 v1, v1
	v_and_b32_e32 v5, 60, v0
	s_sub_i32 s2, s2, s6
	s_sub_i32 s6, 0, s4
	s_add_i32 s3, s3, s14
	s_lshl_b32 s2, s2, 5
	s_clause 0x1
	s_load_b128 s[48:51], s[0:1], 0x180
	s_load_b128 s[44:47], s[0:1], 0x194
	v_add_nc_u32_e32 v13, s2, v4
	s_abs_i32 s2, s3
	s_ashr_i32 s3, s3, 31
	s_waitcnt_depctr 0xfff
	v_mul_f32_e32 v0, 0x4f7ffffe, v1
	v_add_nc_u32_e32 v1, s5, v5
	s_clause 0x1
	s_load_b32 s13, s[0:1], 0x1e0
	s_load_b32 s15, s[0:1], 0x164
	v_cvt_u32_f32_e32 v0, v0
	s_delay_alu instid0(VALU_DEP_1) | instskip(NEXT) | instid1(VALU_DEP_1)
	v_readfirstlane_b32 s5, v0
	s_mul_i32 s6, s6, s5
	s_delay_alu instid0(SALU_CYCLE_1) | instskip(NEXT) | instid1(SALU_CYCLE_1)
	s_mul_hi_u32 s6, s5, s6
	s_add_i32 s5, s5, s6
	s_delay_alu instid0(SALU_CYCLE_1) | instskip(NEXT) | instid1(SALU_CYCLE_1)
	s_mul_hi_u32 s5, s2, s5
	s_mul_i32 s5, s5, s4
	s_delay_alu instid0(SALU_CYCLE_1) | instskip(NEXT) | instid1(SALU_CYCLE_1)
	s_sub_i32 s2, s2, s5
	s_sub_i32 s5, s2, s4
	s_cmp_ge_u32 s2, s4
	s_cselect_b32 s2, s5, s2
	s_delay_alu instid0(SALU_CYCLE_1)
	s_sub_i32 s14, s2, s4
	s_cmp_ge_u32 s2, s4
	s_load_b256 s[4:11], s[0:1], 0x144
	s_cselect_b32 s2, s14, s2
	s_abs_i32 s14, s12
	s_xor_b32 s2, s2, s3
	v_cvt_f32_u32_e32 v6, s14
	s_sub_i32 s2, s2, s3
	s_delay_alu instid0(VALU_DEP_1) | instskip(SKIP_4) | instid1(VALU_DEP_2)
	v_rcp_iflag_f32_e32 v6, v6
	s_waitcnt_depctr 0xfff
	v_mul_f32_e32 v6, 0x4f7ffffe, v6
	s_waitcnt lgkmcnt(0)
	v_mul_hi_u32 v2, s22, v1
	v_cvt_u32_f32_e32 v6, v6
	s_delay_alu instid0(VALU_DEP_2) | instskip(SKIP_1) | instid1(VALU_DEP_2)
	v_add_nc_u32_e32 v0, v1, v2
	v_mul_hi_u32 v2, s51, v13
	v_lshrrev_b32_e32 v0, s26, v0
	s_delay_alu instid0(VALU_DEP_2) | instskip(NEXT) | instid1(VALU_DEP_2)
	v_add_nc_u32_e32 v2, v13, v2
	v_mul_hi_u32 v3, v0, s21
	v_mul_lo_u32 v7, v0, s18
	s_delay_alu instid0(VALU_DEP_3) | instskip(NEXT) | instid1(VALU_DEP_3)
	v_lshrrev_b32_e32 v2, s47, v2
	v_add_nc_u32_e32 v3, v0, v3
	s_delay_alu instid0(VALU_DEP_2) | instskip(NEXT) | instid1(VALU_DEP_4)
	v_mul_hi_u32 v8, v2, s50
	v_sub_nc_u32_e32 v1, v1, v7
	v_mul_lo_u32 v9, v2, s43
	s_delay_alu instid0(VALU_DEP_4) | instskip(NEXT) | instid1(VALU_DEP_3)
	v_lshrrev_b32_e32 v3, s25, v3
	v_mul_lo_u32 v1, v1, s9
	v_readfirstlane_b32 s9, v6
	v_add_nc_u32_e32 v7, v2, v8
	s_delay_alu instid0(VALU_DEP_4)
	v_mul_lo_u32 v10, v3, s17
	s_sub_i32 s17, 0, s14
	v_mul_hi_u32 v8, v3, s20
	s_mul_i32 s17, s17, s9
	v_lshrrev_b32_e32 v7, s46, v7
	s_mul_hi_u32 s3, s9, s17
	s_abs_i32 s17, s2
	s_add_i32 s9, s9, s3
	v_sub_nc_u32_e32 v0, v0, v10
	s_mul_hi_u32 s3, s17, s9
	v_mul_hi_u32 v6, v7, s49
	s_mul_i32 s18, s3, s14
	s_xor_b32 s9, s2, s12
	s_sub_i32 s17, s17, s18
	s_ashr_i32 s9, s9, 31
	s_add_i32 s18, s3, 1
	s_sub_i32 s19, s17, s14
	s_cmp_ge_u32 s17, s14
	v_add_nc_u32_e32 v6, v7, v6
	s_cselect_b32 s3, s18, s3
	s_cselect_b32 s17, s19, s17
	v_mul_lo_u32 v12, v7, s42
	s_add_i32 s18, s3, 1
	s_cmp_ge_u32 s17, s14
	v_lshrrev_b32_e32 v6, s45, v6
	s_cselect_b32 s3, s18, s3
	s_lshr_b32 s14, s30, 29
	s_xor_b32 s3, s3, s9
	s_add_i32 s14, s30, s14
	v_sub_nc_u32_e32 v12, v2, v12
	s_and_b32 s14, s14, -8
	v_mul_hi_u32 v2, v6, s48
	s_sub_i32 s3, s3, s9
	s_sub_i32 s9, s30, s14
	s_cmp_ge_i32 s3, s14
	v_add_nc_u32_e32 v8, v3, v8
	s_cselect_b32 s9, s9, 8
	v_mul_lo_u32 v14, v6, s41
	s_abs_i32 s14, s9
	v_add_nc_u32_e32 v2, v6, v2
	v_cvt_f32_u32_e32 v16, s14
	v_lshrrev_b32_e32 v8, s24, v8
	v_mul_lo_u32 v10, v12, s5
	v_mul_lo_u32 v0, v0, s10
	v_lshrrev_b32_e32 v17, s44, v2
	v_rcp_iflag_f32_e32 v2, v16
	v_mul_lo_u32 v15, v8, s16
	v_sub_nc_u32_e32 v7, v7, v14
	s_ashr_i32 s10, s3, 31
	v_mul_lo_u32 v14, v17, s40
	s_lshr_b32 s10, s10, 29
	v_mul_lo_u32 v8, v8, s15
	s_add_i32 s10, s3, s10
	s_delay_alu instid0(VALU_DEP_4)
	v_sub_nc_u32_e32 v3, v3, v15
	s_waitcnt_depctr 0xfff
	v_mul_f32_e32 v2, 0x4f7ffffe, v2
	v_sub_nc_u32_e32 v9, v13, v9
	v_mul_lo_u32 v15, v7, s6
	v_sub_nc_u32_e32 v6, v6, v14
	v_mul_lo_u32 v3, v3, s11
	s_mul_i32 s11, s3, s12
	v_mul_lo_u32 v11, v9, s4
	s_and_b32 s10, s10, -8
	s_sub_i32 s2, s2, s11
	s_sub_i32 s10, s3, s10
	;; [unrolled: 1-line block ×3, first 2 shown]
	s_mul_i32 s12, s10, s12
	s_delay_alu instid0(SALU_CYCLE_1) | instskip(NEXT) | instid1(VALU_DEP_1)
	s_add_i32 s12, s12, s2
	v_add3_u32 v1, v10, v11, v1
	v_mul_lo_u32 v10, v17, s8
	v_add_nc_u32_e32 v11, 1, v13
	s_delay_alu instid0(VALU_DEP_3) | instskip(SKIP_2) | instid1(VALU_DEP_4)
	v_add3_u32 v0, v1, v15, v0
	v_cvt_u32_f32_e32 v1, v2
	v_mul_lo_u32 v2, v6, s7
	v_mul_hi_u32 v15, s51, v11
	s_delay_alu instid0(VALU_DEP_3) | instskip(NEXT) | instid1(VALU_DEP_3)
	v_readfirstlane_b32 s15, v1
	v_add3_u32 v0, v0, v10, v2
	s_delay_alu instid0(VALU_DEP_2) | instskip(NEXT) | instid1(VALU_DEP_3)
	s_mul_i32 s11, s11, s15
	v_add_nc_u32_e32 v15, v11, v15
	s_mul_hi_u32 s2, s15, s11
	s_abs_i32 s11, s12
	s_add_i32 s15, s15, s2
	v_add3_u32 v8, v0, v8, v3
	s_mul_hi_u32 s2, s11, s15
	s_xor_b32 s15, s12, s9
	s_mul_i32 s16, s2, s14
	s_ashr_i32 s15, s15, 31
	s_sub_i32 s11, s11, s16
	s_add_i32 s16, s2, 1
	s_sub_i32 s17, s11, s14
	s_cmp_ge_u32 s11, s14
	v_lshlrev_b32_e32 v0, 2, v8
	s_cselect_b32 s2, s16, s2
	s_cselect_b32 s11, s17, s11
	s_add_i32 s16, s2, 1
	s_cmp_ge_u32 s11, s14
	v_lshrrev_b32_e32 v15, s47, v15
	s_cselect_b32 s2, s16, s2
	s_lshl_b32 s30, s13, 2
	s_xor_b32 s2, s2, s15
	buffer_load_b128 v[0:3], v0, s[28:31], 0 offen
	s_sub_i32 s2, s2, s15
	s_clause 0x1
	s_load_b256 s[20:27], s[0:1], 0x3e4
	s_load_b128 s[56:59], s[0:1], 0x3cc
	s_mul_i32 s9, s2, s9
	s_lshl_b32 s2, s2, 6
	s_sub_i32 s9, s12, s9
	v_add_nc_u32_e32 v5, s2, v5
	s_add_i32 s9, s9, s3
	s_load_b32 s2, s[0:1], 0x418
	s_sub_i32 s3, s9, s10
	v_mul_hi_u32 v20, v15, s50
	s_lshl_b32 s3, s3, 5
	s_delay_alu instid0(SALU_CYCLE_1) | instskip(SKIP_3) | instid1(VALU_DEP_1)
	v_add_nc_u32_e32 v18, s3, v4
	s_clause 0x1
	s_load_b32 s3, s[0:1], 0x39c
	s_load_b256 s[12:19], s[0:1], 0x37c
	v_mul_hi_u32 v4, s55, v18
	s_delay_alu instid0(VALU_DEP_3) | instskip(SKIP_2) | instid1(VALU_DEP_2)
	v_add_nc_u32_e32 v20, v15, v20
	s_waitcnt lgkmcnt(0)
	v_mul_hi_u32 v10, s26, v5
	v_lshrrev_b32_e32 v20, s46, v20
	s_delay_alu instid0(VALU_DEP_4) | instskip(SKIP_1) | instid1(VALU_DEP_3)
	v_add_nc_u32_e32 v4, v18, v4
	s_lshl_b32 s38, s2, 2
	v_add_nc_u32_e32 v10, v5, v10
	s_delay_alu instid0(VALU_DEP_3) | instskip(NEXT) | instid1(VALU_DEP_3)
	v_mul_hi_u32 v23, v20, s49
	v_lshrrev_b32_e32 v4, s59, v4
	s_delay_alu instid0(VALU_DEP_3) | instskip(NEXT) | instid1(VALU_DEP_2)
	v_lshrrev_b32_e32 v10, s66, v10
	v_mul_hi_u32 v14, v4, s54
	v_mul_lo_u32 v27, v4, s63
	v_add_nc_u32_e32 v23, v20, v23
	s_delay_alu instid0(VALU_DEP_4) | instskip(SKIP_1) | instid1(VALU_DEP_3)
	v_mul_hi_u32 v16, v10, s25
	v_mul_lo_u32 v24, v10, s22
	v_lshrrev_b32_e32 v23, s45, v23
	v_add_nc_u32_e32 v14, v4, v14
	s_delay_alu instid0(VALU_DEP_4) | instskip(NEXT) | instid1(VALU_DEP_3)
	v_add_nc_u32_e32 v16, v10, v16
	v_mul_hi_u32 v31, v23, s48
	s_delay_alu instid0(VALU_DEP_3) | instskip(SKIP_3) | instid1(VALU_DEP_4)
	v_lshrrev_b32_e32 v14, s58, v14
	v_sub_nc_u32_e32 v5, v5, v24
	v_sub_nc_u32_e32 v24, v18, v27
	v_lshrrev_b32_e32 v16, s65, v16
	v_mul_hi_u32 v19, v14, s53
	v_mul_lo_u32 v28, v14, s62
	s_delay_alu instid0(VALU_DEP_4) | instskip(NEXT) | instid1(VALU_DEP_4)
	v_mul_lo_u32 v27, v24, s12
	v_mul_hi_u32 v21, v16, s24
	v_mul_lo_u32 v25, v16, s21
	v_mul_lo_u32 v5, v5, s17
	v_add_nc_u32_e32 v19, v14, v19
	s_delay_alu instid0(VALU_DEP_4) | instskip(NEXT) | instid1(VALU_DEP_4)
	v_add_nc_u32_e32 v21, v16, v21
	v_sub_nc_u32_e32 v10, v10, v25
	s_delay_alu instid0(VALU_DEP_3)
	v_lshrrev_b32_e32 v19, s57, v19
	v_sub_nc_u32_e32 v25, v4, v28
	v_add_nc_u32_e32 v4, v23, v31
	v_lshrrev_b32_e32 v21, s64, v21
	v_mul_lo_u32 v10, v10, s18
	v_mul_hi_u32 v22, v19, s52
	v_mul_lo_u32 v29, v19, s61
	v_mul_lo_u32 v28, v25, s13
	;; [unrolled: 1-line block ×3, first 2 shown]
	s_delay_alu instid0(VALU_DEP_4) | instskip(NEXT) | instid1(VALU_DEP_4)
	v_add_nc_u32_e32 v22, v19, v22
	v_sub_nc_u32_e32 v14, v14, v29
	v_mul_lo_u32 v29, v23, s41
	s_delay_alu instid0(VALU_DEP_4) | instskip(SKIP_3) | instid1(VALU_DEP_2)
	v_sub_nc_u32_e32 v16, v16, v26
	v_mul_lo_u32 v26, v15, s43
	v_lshrrev_b32_e32 v22, s56, v22
	v_mul_lo_u32 v31, v14, s14
	v_mul_lo_u32 v30, v22, s60
	v_mul_lo_u32 v33, v22, s16
	v_sub_nc_u32_e32 v11, v11, v26
	s_delay_alu instid0(VALU_DEP_1) | instskip(NEXT) | instid1(VALU_DEP_4)
	v_sub_nc_u32_e32 v9, v11, v9
	v_sub_nc_u32_e32 v19, v19, v30
	v_lshrrev_b32_e32 v30, s44, v4
	v_mul_lo_u32 v4, v20, s42
	v_sub_nc_u32_e32 v20, v20, v29
	s_delay_alu instid0(VALU_DEP_4) | instskip(NEXT) | instid1(VALU_DEP_4)
	v_mul_lo_u32 v32, v19, s15
	v_mul_lo_u32 v26, v30, s40
	s_delay_alu instid0(VALU_DEP_3)
	v_sub_nc_u32_e32 v7, v20, v7
	v_sub_nc_u32_e32 v15, v15, v4
	v_mul_lo_u32 v4, v9, s4
	v_sub_nc_u32_e32 v9, v30, v17
	v_add3_u32 v17, v28, v27, v5
	v_sub_nc_u32_e32 v23, v23, v26
	v_sub_nc_u32_e32 v12, v15, v12
	v_mul_lo_u32 v7, v7, s6
	v_mul_lo_u32 v9, v9, s8
	s_delay_alu instid0(VALU_DEP_4) | instskip(NEXT) | instid1(VALU_DEP_4)
	v_sub_nc_u32_e32 v26, v23, v6
	v_mad_u64_u32 v[5:6], null, v12, s5, v[4:5]
	v_add3_u32 v4, v17, v31, v10
	v_mul_lo_u32 v6, v16, s19
	v_mul_lo_u32 v10, v21, s3
	;; [unrolled: 1-line block ×3, first 2 shown]
	s_delay_alu instid0(VALU_DEP_4) | instskip(SKIP_1) | instid1(VALU_DEP_2)
	v_add3_u32 v4, v4, v33, v32
	v_add3_u32 v5, v5, v7, v9
	;; [unrolled: 1-line block ×3, first 2 shown]
	s_delay_alu instid0(VALU_DEP_2) | instskip(SKIP_1) | instid1(VALU_DEP_3)
	v_add3_u32 v17, v5, v12, v8
	v_add_nc_u32_e32 v6, 2, v13
	v_lshlrev_b32_e32 v4, 2, v16
	s_delay_alu instid0(VALU_DEP_3) | instskip(NEXT) | instid1(VALU_DEP_3)
	v_lshlrev_b32_e32 v5, 2, v17
	v_mul_hi_u32 v8, s51, v6
	s_delay_alu instid0(VALU_DEP_1) | instskip(NEXT) | instid1(VALU_DEP_1)
	v_add_nc_u32_e32 v8, v6, v8
	v_lshrrev_b32_e32 v8, s47, v8
	s_delay_alu instid0(VALU_DEP_1) | instskip(NEXT) | instid1(VALU_DEP_1)
	v_mul_hi_u32 v10, v8, s50
	v_add_nc_u32_e32 v10, v8, v10
	s_delay_alu instid0(VALU_DEP_1) | instskip(NEXT) | instid1(VALU_DEP_1)
	v_lshrrev_b32_e32 v10, s46, v10
	v_mul_hi_u32 v21, v10, s49
	s_delay_alu instid0(VALU_DEP_1) | instskip(SKIP_4) | instid1(VALU_DEP_1)
	v_add_nc_u32_e32 v21, v10, v21
	s_waitcnt vmcnt(0)
	buffer_store_b128 v[0:3], v4, s[36:39], 0 offen
	buffer_load_b128 v[0:3], v5, s[28:31], 0 offen
	v_add_nc_u32_e32 v4, 1, v18
	v_mul_hi_u32 v5, s55, v4
	s_delay_alu instid0(VALU_DEP_1) | instskip(NEXT) | instid1(VALU_DEP_1)
	v_add_nc_u32_e32 v5, v4, v5
	v_lshrrev_b32_e32 v5, s59, v5
	s_delay_alu instid0(VALU_DEP_1) | instskip(SKIP_1) | instid1(VALU_DEP_2)
	v_mul_hi_u32 v7, v5, s54
	v_mul_lo_u32 v26, v5, s63
	v_add_nc_u32_e32 v7, v5, v7
	s_delay_alu instid0(VALU_DEP_1) | instskip(NEXT) | instid1(VALU_DEP_1)
	v_lshrrev_b32_e32 v7, s58, v7
	v_mul_hi_u32 v9, v7, s53
	s_delay_alu instid0(VALU_DEP_1) | instskip(NEXT) | instid1(VALU_DEP_1)
	v_add_nc_u32_e32 v9, v7, v9
	v_lshrrev_b32_e32 v9, s57, v9
	s_delay_alu instid0(VALU_DEP_1) | instskip(NEXT) | instid1(VALU_DEP_1)
	v_mul_hi_u32 v12, v9, s52
	v_add_nc_u32_e32 v12, v9, v12
	s_delay_alu instid0(VALU_DEP_1)
	v_lshrrev_b32_e32 v27, s56, v12
	v_lshrrev_b32_e32 v12, s45, v21
	v_sub_nc_u32_e32 v21, v4, v26
	v_mul_lo_u32 v4, v7, s62
	v_mul_lo_u32 v26, v9, s61
	;; [unrolled: 1-line block ×3, first 2 shown]
	v_mul_hi_u32 v29, v12, s48
	v_sub_nc_u32_e32 v24, v21, v24
	v_sub_nc_u32_e32 v31, v5, v4
	v_mul_lo_u32 v5, v8, s43
	v_sub_nc_u32_e32 v26, v7, v26
	v_sub_nc_u32_e32 v28, v9, v28
	v_add_nc_u32_e32 v4, v12, v29
	v_mul_lo_u32 v9, v12, s41
	v_sub_nc_u32_e32 v25, v31, v25
	v_sub_nc_u32_e32 v7, v26, v14
	;; [unrolled: 1-line block ×3, first 2 shown]
	v_lshrrev_b32_e32 v29, s44, v4
	v_sub_nc_u32_e32 v19, v27, v22
	v_mul_lo_u32 v22, v10, s42
	v_sub_nc_u32_e32 v4, v6, v5
	v_mul_lo_u32 v5, v24, s12
	v_mul_lo_u32 v32, v29, s40
	v_sub_nc_u32_e32 v6, v10, v9
	v_mul_lo_u32 v24, v7, s14
	v_sub_nc_u32_e32 v9, v4, v11
	v_mul_lo_u32 v19, v19, s16
	v_sub_nc_u32_e32 v7, v8, v22
	v_sub_nc_u32_e32 v20, v6, v20
	v_mad_u64_u32 v[10:11], null, v25, s13, v[5:6]
	v_mul_lo_u32 v9, v9, s4
	v_sub_nc_u32_e32 v8, v12, v32
	v_sub_nc_u32_e32 v12, v29, v30
	;; [unrolled: 1-line block ×3, first 2 shown]
	v_mul_lo_u32 v20, v20, s6
	s_delay_alu instid0(VALU_DEP_4) | instskip(NEXT) | instid1(VALU_DEP_4)
	v_sub_nc_u32_e32 v15, v8, v23
	v_mul_lo_u32 v22, v12, s8
	s_delay_alu instid0(VALU_DEP_4) | instskip(SKIP_1) | instid1(VALU_DEP_4)
	v_mad_u64_u32 v[11:12], null, v5, s5, v[9:10]
	v_mul_lo_u32 v5, v14, s15
	v_mul_lo_u32 v9, v15, s7
	v_add3_u32 v10, v10, v24, v19
	s_delay_alu instid0(VALU_DEP_4) | instskip(SKIP_1) | instid1(VALU_DEP_3)
	v_add3_u32 v11, v11, v20, v22
	v_add_nc_u32_e32 v20, 3, v13
	v_add3_u32 v19, v10, v5, v16
	s_delay_alu instid0(VALU_DEP_3) | instskip(NEXT) | instid1(VALU_DEP_3)
	v_add3_u32 v17, v11, v9, v17
	v_mul_hi_u32 v11, s51, v20
	s_delay_alu instid0(VALU_DEP_3) | instskip(NEXT) | instid1(VALU_DEP_3)
	v_lshlrev_b32_e32 v5, 2, v19
	v_lshlrev_b32_e32 v9, 2, v17
	s_delay_alu instid0(VALU_DEP_3) | instskip(NEXT) | instid1(VALU_DEP_1)
	v_add_nc_u32_e32 v11, v20, v11
	v_lshrrev_b32_e32 v22, s47, v11
	s_delay_alu instid0(VALU_DEP_1) | instskip(NEXT) | instid1(VALU_DEP_1)
	v_mul_hi_u32 v11, v22, s50
	v_add_nc_u32_e32 v11, v22, v11
	s_delay_alu instid0(VALU_DEP_1) | instskip(NEXT) | instid1(VALU_DEP_1)
	v_lshrrev_b32_e32 v23, s46, v11
	v_mul_hi_u32 v11, v23, s49
	s_delay_alu instid0(VALU_DEP_1) | instskip(NEXT) | instid1(VALU_DEP_1)
	v_add_nc_u32_e32 v11, v23, v11
	v_lshrrev_b32_e32 v25, s45, v11
	s_waitcnt vmcnt(0)
	buffer_store_b128 v[0:3], v5, s[36:39], 0 offen
	buffer_load_b128 v[0:3], v9, s[28:31], 0 offen
	v_add_nc_u32_e32 v5, 2, v18
	s_delay_alu instid0(VALU_DEP_1) | instskip(NEXT) | instid1(VALU_DEP_1)
	v_mul_hi_u32 v9, s55, v5
	v_add_nc_u32_e32 v9, v5, v9
	s_delay_alu instid0(VALU_DEP_1) | instskip(NEXT) | instid1(VALU_DEP_1)
	v_lshrrev_b32_e32 v9, s59, v9
	v_mul_hi_u32 v10, v9, s54
	v_mul_lo_u32 v14, v9, s63
	s_delay_alu instid0(VALU_DEP_2) | instskip(NEXT) | instid1(VALU_DEP_2)
	v_add_nc_u32_e32 v10, v9, v10
	v_sub_nc_u32_e32 v5, v5, v14
	s_delay_alu instid0(VALU_DEP_2) | instskip(NEXT) | instid1(VALU_DEP_1)
	v_lshrrev_b32_e32 v10, s58, v10
	v_mul_hi_u32 v12, v10, s53
	s_delay_alu instid0(VALU_DEP_1) | instskip(NEXT) | instid1(VALU_DEP_1)
	v_add_nc_u32_e32 v12, v10, v12
	v_lshrrev_b32_e32 v12, s57, v12
	s_delay_alu instid0(VALU_DEP_1) | instskip(SKIP_1) | instid1(VALU_DEP_2)
	v_mul_hi_u32 v13, v12, s52
	v_mul_lo_u32 v15, v12, s61
	v_add_nc_u32_e32 v13, v12, v13
	s_delay_alu instid0(VALU_DEP_1) | instskip(SKIP_1) | instid1(VALU_DEP_4)
	v_lshrrev_b32_e32 v24, s56, v13
	v_mul_lo_u32 v13, v10, s62
	v_sub_nc_u32_e32 v10, v10, v15
	s_delay_alu instid0(VALU_DEP_3) | instskip(SKIP_1) | instid1(VALU_DEP_3)
	v_mul_lo_u32 v16, v24, s60
	v_sub_nc_u32_e32 v27, v24, v27
	v_sub_nc_u32_e32 v26, v10, v26
	;; [unrolled: 1-line block ×3, first 2 shown]
	v_mul_hi_u32 v13, v25, s48
	v_sub_nc_u32_e32 v11, v12, v16
	v_sub_nc_u32_e32 v12, v5, v21
	s_delay_alu instid0(VALU_DEP_4) | instskip(NEXT) | instid1(VALU_DEP_4)
	v_sub_nc_u32_e32 v21, v9, v31
	v_add_nc_u32_e32 v15, v25, v13
	v_mad_u64_u32 v[13:14], null, v22, s43, v[4:5]
	s_delay_alu instid0(VALU_DEP_4) | instskip(SKIP_1) | instid1(VALU_DEP_4)
	v_mul_lo_u32 v12, v12, s12
	v_sub_nc_u32_e32 v28, v11, v28
	v_lshrrev_b32_e32 v4, s44, v15
	v_mad_u64_u32 v[14:15], null, v23, s42, v[7:8]
	v_mad_u64_u32 v[15:16], null, v25, s41, v[6:7]
	s_delay_alu instid0(VALU_DEP_3)
	v_mad_u64_u32 v[6:7], null, v4, s40, v[8:9]
	v_mad_u64_u32 v[7:8], null, v21, s13, v[12:13]
	v_sub_nc_u32_e32 v8, v20, v13
	v_sub_nc_u32_e32 v12, v22, v14
	;; [unrolled: 1-line block ×3, first 2 shown]
	v_mul_lo_u32 v16, v26, s14
	v_mul_lo_u32 v26, v27, s16
	v_sub_nc_u32_e32 v6, v25, v6
	v_sub_nc_u32_e32 v4, v4, v29
	v_mul_lo_u32 v8, v8, s4
	v_mul_lo_u32 v12, v12, s5
	;; [unrolled: 1-line block ×6, first 2 shown]
	v_add3_u32 v7, v7, v16, v26
	v_add3_u32 v8, v12, v8, v13
	s_delay_alu instid0(VALU_DEP_2) | instskip(SKIP_1) | instid1(VALU_DEP_3)
	v_add3_u32 v12, v7, v14, v19
	v_add_nc_u32_e32 v13, 3, v18
	v_add3_u32 v4, v8, v4, v6
	s_delay_alu instid0(VALU_DEP_3) | instskip(NEXT) | instid1(VALU_DEP_2)
	v_lshlrev_b32_e32 v6, 2, v12
	v_add_lshl_u32 v4, v4, v17, 2
	s_waitcnt vmcnt(0)
	buffer_store_b128 v[0:3], v6, s[36:39], 0 offen
	buffer_load_b128 v[0:3], v4, s[28:31], 0 offen
	v_mul_hi_u32 v4, s55, v13
	s_delay_alu instid0(VALU_DEP_1) | instskip(NEXT) | instid1(VALU_DEP_1)
	v_add_nc_u32_e32 v4, v13, v4
	v_lshrrev_b32_e32 v14, s59, v4
	s_delay_alu instid0(VALU_DEP_1) | instskip(SKIP_1) | instid1(VALU_DEP_2)
	v_mul_hi_u32 v4, v14, s54
	v_mad_u64_u32 v[6:7], null, v14, s63, v[5:6]
	v_add_nc_u32_e32 v4, v14, v4
	s_delay_alu instid0(VALU_DEP_1) | instskip(NEXT) | instid1(VALU_DEP_1)
	v_lshrrev_b32_e32 v15, s58, v4
	v_mul_hi_u32 v4, v15, s53
	s_delay_alu instid0(VALU_DEP_1) | instskip(NEXT) | instid1(VALU_DEP_1)
	v_add_nc_u32_e32 v4, v15, v4
	v_lshrrev_b32_e32 v16, s57, v4
	s_delay_alu instid0(VALU_DEP_1) | instskip(SKIP_1) | instid1(VALU_DEP_2)
	v_mul_hi_u32 v4, v16, s52
	v_mad_u64_u32 v[7:8], null, v16, s61, v[10:11]
	v_add_nc_u32_e32 v4, v16, v4
	s_delay_alu instid0(VALU_DEP_1) | instskip(SKIP_3) | instid1(VALU_DEP_4)
	v_lshrrev_b32_e32 v17, s56, v4
	v_mad_u64_u32 v[4:5], null, v15, s62, v[9:10]
	v_sub_nc_u32_e32 v5, v13, v6
	v_sub_nc_u32_e32 v6, v15, v7
	v_mad_u64_u32 v[8:9], null, v17, s60, v[11:12]
	s_delay_alu instid0(VALU_DEP_3) | instskip(SKIP_1) | instid1(VALU_DEP_4)
	v_mul_lo_u32 v5, v5, s12
	v_sub_nc_u32_e32 v4, v14, v4
	v_mul_lo_u32 v6, v6, s14
	s_delay_alu instid0(VALU_DEP_4) | instskip(SKIP_1) | instid1(VALU_DEP_4)
	v_sub_nc_u32_e32 v7, v16, v8
	v_sub_nc_u32_e32 v8, v17, v24
	v_mul_lo_u32 v4, v4, s13
	s_delay_alu instid0(VALU_DEP_3) | instskip(NEXT) | instid1(VALU_DEP_3)
	v_mul_lo_u32 v7, v7, s15
	v_mul_lo_u32 v8, v8, s16
	s_delay_alu instid0(VALU_DEP_3) | instskip(NEXT) | instid1(VALU_DEP_1)
	v_add3_u32 v4, v4, v5, v6
	v_add3_u32 v4, v4, v8, v7
	s_delay_alu instid0(VALU_DEP_1)
	v_add_lshl_u32 v4, v4, v12, 2
	s_waitcnt vmcnt(0)
	buffer_store_b128 v[0:3], v4, s[36:39], 0 offen
	s_nop 0
	s_sendmsg sendmsg(MSG_DEALLOC_VGPRS)
	s_endpgm
	.section	.rodata,"a",@progbits
	.p2align	6, 0x0
	.amdhsa_kernel _Z23DeviceImageToColumnPad0IN2ck7wrapper6TensorILNS0_16AddressSpaceEnumE1EKfNS0_5TupleIJNS5_IJiNS5_IJiiiiEEEEEES6_EEENS0_16TensorDescriptorINS5_IJNS0_5EmbedINS5_IJiiiiiiiiiEEESB_Lb0EEEEEENS5_IJNS0_8SequenceIJLi0EEEEEEENS5_IJNSE_IJLi1ELi2ELi3ELi4ELi5ELi6ELi7ELi8ELi9EEEEEEESH_lEEEENS2_ILS3_1EfS8_SJ_EEKNS5_IJNS0_17integral_constantIiLi32EEENSM_IiLi64EEEEEEKNS1_6LayoutINS5_IJNSM_IiLi8EEENSM_IiLi16EEEEEENS9_INS5_IJNSA_ISU_NS5_IJST_NSM_IiLi1EEEEEELb0EEEEEESG_NS5_IJNSE_IJLi1ELi2EEEEEEESZ_NSM_IlLl128EEEEEEEEvT_T0_T1_T2_
		.amdhsa_group_segment_fixed_size 0
		.amdhsa_private_segment_fixed_size 0
		.amdhsa_kernarg_size 1168
		.amdhsa_user_sgpr_count 14
		.amdhsa_user_sgpr_dispatch_ptr 0
		.amdhsa_user_sgpr_queue_ptr 0
		.amdhsa_user_sgpr_kernarg_segment_ptr 1
		.amdhsa_user_sgpr_dispatch_id 0
		.amdhsa_user_sgpr_private_segment_size 0
		.amdhsa_wavefront_size32 1
		.amdhsa_uses_dynamic_stack 0
		.amdhsa_enable_private_segment 0
		.amdhsa_system_sgpr_workgroup_id_x 1
		.amdhsa_system_sgpr_workgroup_id_y 1
		.amdhsa_system_sgpr_workgroup_id_z 0
		.amdhsa_system_sgpr_workgroup_info 0
		.amdhsa_system_vgpr_workitem_id 0
		.amdhsa_next_free_vgpr 34
		.amdhsa_next_free_sgpr 68
		.amdhsa_reserve_vcc 0
		.amdhsa_float_round_mode_32 0
		.amdhsa_float_round_mode_16_64 0
		.amdhsa_float_denorm_mode_32 3
		.amdhsa_float_denorm_mode_16_64 3
		.amdhsa_dx10_clamp 1
		.amdhsa_ieee_mode 1
		.amdhsa_fp16_overflow 0
		.amdhsa_workgroup_processor_mode 1
		.amdhsa_memory_ordered 1
		.amdhsa_forward_progress 0
		.amdhsa_shared_vgpr_count 0
		.amdhsa_exception_fp_ieee_invalid_op 0
		.amdhsa_exception_fp_denorm_src 0
		.amdhsa_exception_fp_ieee_div_zero 0
		.amdhsa_exception_fp_ieee_overflow 0
		.amdhsa_exception_fp_ieee_underflow 0
		.amdhsa_exception_fp_ieee_inexact 0
		.amdhsa_exception_int_div_zero 0
	.end_amdhsa_kernel
	.section	.text._Z23DeviceImageToColumnPad0IN2ck7wrapper6TensorILNS0_16AddressSpaceEnumE1EKfNS0_5TupleIJNS5_IJiNS5_IJiiiiEEEEEES6_EEENS0_16TensorDescriptorINS5_IJNS0_5EmbedINS5_IJiiiiiiiiiEEESB_Lb0EEEEEENS5_IJNS0_8SequenceIJLi0EEEEEEENS5_IJNSE_IJLi1ELi2ELi3ELi4ELi5ELi6ELi7ELi8ELi9EEEEEEESH_lEEEENS2_ILS3_1EfS8_SJ_EEKNS5_IJNS0_17integral_constantIiLi32EEENSM_IiLi64EEEEEEKNS1_6LayoutINS5_IJNSM_IiLi8EEENSM_IiLi16EEEEEENS9_INS5_IJNSA_ISU_NS5_IJST_NSM_IiLi1EEEEEELb0EEEEEESG_NS5_IJNSE_IJLi1ELi2EEEEEEESZ_NSM_IlLl128EEEEEEEEvT_T0_T1_T2_,"axG",@progbits,_Z23DeviceImageToColumnPad0IN2ck7wrapper6TensorILNS0_16AddressSpaceEnumE1EKfNS0_5TupleIJNS5_IJiNS5_IJiiiiEEEEEES6_EEENS0_16TensorDescriptorINS5_IJNS0_5EmbedINS5_IJiiiiiiiiiEEESB_Lb0EEEEEENS5_IJNS0_8SequenceIJLi0EEEEEEENS5_IJNSE_IJLi1ELi2ELi3ELi4ELi5ELi6ELi7ELi8ELi9EEEEEEESH_lEEEENS2_ILS3_1EfS8_SJ_EEKNS5_IJNS0_17integral_constantIiLi32EEENSM_IiLi64EEEEEEKNS1_6LayoutINS5_IJNSM_IiLi8EEENSM_IiLi16EEEEEENS9_INS5_IJNSA_ISU_NS5_IJST_NSM_IiLi1EEEEEELb0EEEEEESG_NS5_IJNSE_IJLi1ELi2EEEEEEESZ_NSM_IlLl128EEEEEEEEvT_T0_T1_T2_,comdat
.Lfunc_end1:
	.size	_Z23DeviceImageToColumnPad0IN2ck7wrapper6TensorILNS0_16AddressSpaceEnumE1EKfNS0_5TupleIJNS5_IJiNS5_IJiiiiEEEEEES6_EEENS0_16TensorDescriptorINS5_IJNS0_5EmbedINS5_IJiiiiiiiiiEEESB_Lb0EEEEEENS5_IJNS0_8SequenceIJLi0EEEEEEENS5_IJNSE_IJLi1ELi2ELi3ELi4ELi5ELi6ELi7ELi8ELi9EEEEEEESH_lEEEENS2_ILS3_1EfS8_SJ_EEKNS5_IJNS0_17integral_constantIiLi32EEENSM_IiLi64EEEEEEKNS1_6LayoutINS5_IJNSM_IiLi8EEENSM_IiLi16EEEEEENS9_INS5_IJNSA_ISU_NS5_IJST_NSM_IiLi1EEEEEELb0EEEEEESG_NS5_IJNSE_IJLi1ELi2EEEEEEESZ_NSM_IlLl128EEEEEEEEvT_T0_T1_T2_, .Lfunc_end1-_Z23DeviceImageToColumnPad0IN2ck7wrapper6TensorILNS0_16AddressSpaceEnumE1EKfNS0_5TupleIJNS5_IJiNS5_IJiiiiEEEEEES6_EEENS0_16TensorDescriptorINS5_IJNS0_5EmbedINS5_IJiiiiiiiiiEEESB_Lb0EEEEEENS5_IJNS0_8SequenceIJLi0EEEEEEENS5_IJNSE_IJLi1ELi2ELi3ELi4ELi5ELi6ELi7ELi8ELi9EEEEEEESH_lEEEENS2_ILS3_1EfS8_SJ_EEKNS5_IJNS0_17integral_constantIiLi32EEENSM_IiLi64EEEEEEKNS1_6LayoutINS5_IJNSM_IiLi8EEENSM_IiLi16EEEEEENS9_INS5_IJNSA_ISU_NS5_IJST_NSM_IiLi1EEEEEELb0EEEEEESG_NS5_IJNSE_IJLi1ELi2EEEEEEESZ_NSM_IlLl128EEEEEEEEvT_T0_T1_T2_
                                        ; -- End function
	.section	.AMDGPU.csdata,"",@progbits
; Kernel info:
; codeLenInByte = 3468
; NumSgprs: 68
; NumVgprs: 34
; ScratchSize: 0
; MemoryBound: 0
; FloatMode: 240
; IeeeMode: 1
; LDSByteSize: 0 bytes/workgroup (compile time only)
; SGPRBlocks: 8
; VGPRBlocks: 4
; NumSGPRsForWavesPerEU: 68
; NumVGPRsForWavesPerEU: 34
; Occupancy: 16
; WaveLimiterHint : 1
; COMPUTE_PGM_RSRC2:SCRATCH_EN: 0
; COMPUTE_PGM_RSRC2:USER_SGPR: 14
; COMPUTE_PGM_RSRC2:TRAP_HANDLER: 0
; COMPUTE_PGM_RSRC2:TGID_X_EN: 1
; COMPUTE_PGM_RSRC2:TGID_Y_EN: 1
; COMPUTE_PGM_RSRC2:TGID_Z_EN: 0
; COMPUTE_PGM_RSRC2:TIDIG_COMP_CNT: 0
	.text
	.p2alignl 7, 3214868480
	.fill 96, 4, 3214868480
	.type	__hip_cuid_3c27b37025a2a235,@object ; @__hip_cuid_3c27b37025a2a235
	.section	.bss,"aw",@nobits
	.globl	__hip_cuid_3c27b37025a2a235
__hip_cuid_3c27b37025a2a235:
	.byte	0                               ; 0x0
	.size	__hip_cuid_3c27b37025a2a235, 1

	.ident	"AMD clang version 19.0.0git (https://github.com/RadeonOpenCompute/llvm-project roc-6.4.0 25133 c7fe45cf4b819c5991fe208aaa96edf142730f1d)"
	.section	".note.GNU-stack","",@progbits
	.addrsig
	.addrsig_sym __hip_cuid_3c27b37025a2a235
	.amdgpu_metadata
---
amdhsa.kernels:
  - .args:           []
    .group_segment_fixed_size: 0
    .kernarg_segment_align: 4
    .kernarg_segment_size: 0
    .language:       OpenCL C
    .language_version:
      - 2
      - 0
    .max_flat_workgroup_size: 1024
    .name:           _ZN2ckL12flush_icacheEv
    .private_segment_fixed_size: 0
    .sgpr_count:     0
    .sgpr_spill_count: 0
    .symbol:         _ZN2ckL12flush_icacheEv.kd
    .uniform_work_group_size: 1
    .uses_dynamic_stack: false
    .vgpr_count:     0
    .vgpr_spill_count: 0
    .wavefront_size: 32
    .workgroup_processor_mode: 1
  - .args:
      - .offset:         0
        .size:           568
        .value_kind:     by_value
      - .offset:         568
        .size:           568
        .value_kind:     by_value
      - .offset:         1136
        .size:           2
        .value_kind:     by_value
      - .offset:         1138
        .size:           27
        .value_kind:     by_value
    .group_segment_fixed_size: 0
    .kernarg_segment_align: 8
    .kernarg_segment_size: 1168
    .language:       OpenCL C
    .language_version:
      - 2
      - 0
    .max_flat_workgroup_size: 256
    .name:           _Z23DeviceImageToColumnPad0IN2ck7wrapper6TensorILNS0_16AddressSpaceEnumE1EKfNS0_5TupleIJNS5_IJiNS5_IJiiiiEEEEEES6_EEENS0_16TensorDescriptorINS5_IJNS0_5EmbedINS5_IJiiiiiiiiiEEESB_Lb0EEEEEENS5_IJNS0_8SequenceIJLi0EEEEEEENS5_IJNSE_IJLi1ELi2ELi3ELi4ELi5ELi6ELi7ELi8ELi9EEEEEEESH_lEEEENS2_ILS3_1EfS8_SJ_EEKNS5_IJNS0_17integral_constantIiLi32EEENSM_IiLi64EEEEEEKNS1_6LayoutINS5_IJNSM_IiLi8EEENSM_IiLi16EEEEEENS9_INS5_IJNSA_ISU_NS5_IJST_NSM_IiLi1EEEEEELb0EEEEEESG_NS5_IJNSE_IJLi1ELi2EEEEEEESZ_NSM_IlLl128EEEEEEEEvT_T0_T1_T2_
    .private_segment_fixed_size: 0
    .sgpr_count:     68
    .sgpr_spill_count: 0
    .symbol:         _Z23DeviceImageToColumnPad0IN2ck7wrapper6TensorILNS0_16AddressSpaceEnumE1EKfNS0_5TupleIJNS5_IJiNS5_IJiiiiEEEEEES6_EEENS0_16TensorDescriptorINS5_IJNS0_5EmbedINS5_IJiiiiiiiiiEEESB_Lb0EEEEEENS5_IJNS0_8SequenceIJLi0EEEEEEENS5_IJNSE_IJLi1ELi2ELi3ELi4ELi5ELi6ELi7ELi8ELi9EEEEEEESH_lEEEENS2_ILS3_1EfS8_SJ_EEKNS5_IJNS0_17integral_constantIiLi32EEENSM_IiLi64EEEEEEKNS1_6LayoutINS5_IJNSM_IiLi8EEENSM_IiLi16EEEEEENS9_INS5_IJNSA_ISU_NS5_IJST_NSM_IiLi1EEEEEELb0EEEEEESG_NS5_IJNSE_IJLi1ELi2EEEEEEESZ_NSM_IlLl128EEEEEEEEvT_T0_T1_T2_.kd
    .uniform_work_group_size: 1
    .uses_dynamic_stack: false
    .vgpr_count:     34
    .vgpr_spill_count: 0
    .wavefront_size: 32
    .workgroup_processor_mode: 1
amdhsa.target:   amdgcn-amd-amdhsa--gfx1100
amdhsa.version:
  - 1
  - 2
...

	.end_amdgpu_metadata
